;; amdgpu-corpus repo=ROCm/rocFFT kind=compiled arch=gfx906 opt=O3
	.text
	.amdgcn_target "amdgcn-amd-amdhsa--gfx906"
	.amdhsa_code_object_version 6
	.protected	bluestein_single_back_len44_dim1_sp_op_CI_CI ; -- Begin function bluestein_single_back_len44_dim1_sp_op_CI_CI
	.globl	bluestein_single_back_len44_dim1_sp_op_CI_CI
	.p2align	8
	.type	bluestein_single_back_len44_dim1_sp_op_CI_CI,@function
bluestein_single_back_len44_dim1_sp_op_CI_CI: ; @bluestein_single_back_len44_dim1_sp_op_CI_CI
; %bb.0:
	s_load_dwordx4 s[12:15], s[4:5], 0x28
	v_lshrrev_b32_e32 v1, 2, v0
	v_lshl_or_b32 v50, s6, 4, v1
	v_mov_b32_e32 v51, 0
	s_waitcnt lgkmcnt(0)
	v_cmp_gt_u64_e32 vcc, s[12:13], v[50:51]
	s_and_saveexec_b64 s[0:1], vcc
	s_cbranch_execz .LBB0_10
; %bb.1:
	s_load_dwordx4 s[0:3], s[4:5], 0x18
	s_load_dwordx4 s[8:11], s[4:5], 0x0
	v_and_b32_e32 v65, 3, v0
	v_lshlrev_b32_e32 v61, 3, v65
	v_mul_u32_u24_e32 v63, 44, v1
	s_waitcnt lgkmcnt(0)
	s_load_dwordx4 s[16:19], s[0:1], 0x0
	v_lshl_or_b32 v66, v63, 3, v61
	s_load_dwordx2 s[12:13], s[4:5], 0x38
	v_mov_b32_e32 v53, s9
	s_waitcnt lgkmcnt(0)
	v_mad_u64_u32 v[2:3], s[0:1], s18, v50, 0
	v_mad_u64_u32 v[4:5], s[0:1], s16, v65, 0
	v_mov_b32_e32 v0, v3
	v_mov_b32_e32 v3, v5
	v_mad_u64_u32 v[5:6], s[0:1], s19, v50, v[0:1]
	v_mad_u64_u32 v[6:7], s[0:1], s17, v65, v[3:4]
	v_mov_b32_e32 v3, v5
	v_lshlrev_b64 v[2:3], 3, v[2:3]
	v_mov_b32_e32 v5, v6
	v_mov_b32_e32 v0, s15
	v_lshlrev_b64 v[4:5], 3, v[4:5]
	v_add_co_u32_e32 v2, vcc, s14, v2
	v_addc_co_u32_e32 v0, vcc, v0, v3, vcc
	v_add_co_u32_e32 v2, vcc, v2, v4
	v_addc_co_u32_e32 v3, vcc, v0, v5, vcc
	s_lshl_b64 s[0:1], s[16:17], 5
	global_load_dwordx2 v[4:5], v[2:3], off
	v_mov_b32_e32 v0, s1
	v_add_co_u32_e32 v2, vcc, s0, v2
	v_addc_co_u32_e32 v3, vcc, v3, v0, vcc
	global_load_dwordx2 v[6:7], v[2:3], off
	v_add_co_u32_e32 v2, vcc, s0, v2
	v_addc_co_u32_e32 v3, vcc, v3, v0, vcc
	v_add_co_u32_e32 v8, vcc, s0, v2
	v_addc_co_u32_e32 v9, vcc, v3, v0, vcc
	;; [unrolled: 2-line block ×3, first 2 shown]
	global_load_dwordx2 v[48:49], v61, s[8:9]
	global_load_dwordx2 v[46:47], v61, s[8:9] offset:32
	global_load_dwordx2 v[40:41], v61, s[8:9] offset:64
	;; [unrolled: 1-line block ×3, first 2 shown]
	global_load_dwordx2 v[12:13], v[2:3], off
	global_load_dwordx2 v[14:15], v[8:9], off
	;; [unrolled: 1-line block ×3, first 2 shown]
	v_add_co_u32_e32 v2, vcc, s0, v10
	v_addc_co_u32_e32 v3, vcc, v11, v0, vcc
	global_load_dwordx2 v[8:9], v[2:3], off
	global_load_dwordx2 v[42:43], v61, s[8:9] offset:128
	global_load_dwordx2 v[30:31], v61, s[8:9] offset:160
	v_add_co_u32_e32 v2, vcc, s0, v2
	v_addc_co_u32_e32 v3, vcc, v3, v0, vcc
	global_load_dwordx2 v[10:11], v[2:3], off
	v_add_co_u32_e32 v2, vcc, s0, v2
	v_addc_co_u32_e32 v3, vcc, v3, v0, vcc
	global_load_dwordx2 v[18:19], v[2:3], off
	global_load_dwordx2 v[44:45], v61, s[8:9] offset:192
	global_load_dwordx2 v[32:33], v61, s[8:9] offset:224
	v_add_co_u32_e32 v2, vcc, s0, v2
	v_addc_co_u32_e32 v3, vcc, v3, v0, vcc
	global_load_dwordx2 v[20:21], v[2:3], off
	global_load_dwordx2 v[38:39], v61, s[8:9] offset:256
	v_add_co_u32_e32 v2, vcc, s0, v2
	v_addc_co_u32_e32 v3, vcc, v3, v0, vcc
	global_load_dwordx2 v[22:23], v[2:3], off
	global_load_dwordx2 v[34:35], v61, s[8:9] offset:288
	v_add_co_u32_e32 v2, vcc, s0, v2
	v_addc_co_u32_e32 v3, vcc, v3, v0, vcc
	global_load_dwordx2 v[36:37], v61, s[8:9] offset:320
	global_load_dwordx2 v[24:25], v[2:3], off
	v_or_b32_e32 v0, v63, v65
	v_lshlrev_b32_e32 v67, 3, v0
	s_load_dwordx4 s[4:7], s[2:3], 0x0
	s_mov_b32 s2, 0x3f575c64
	s_mov_b32 s0, 0x3ed4b147
	s_mov_b32 s1, 0xbe11bafb
	s_mov_b32 s3, 0xbf27a4f4
	s_mov_b32 s14, 0xbf75a155
	s_waitcnt vmcnt(19)
	v_mul_f32_e32 v0, v5, v49
	v_mul_f32_e32 v1, v4, v49
	v_fmac_f32_e32 v0, v4, v48
	v_fma_f32 v1, v5, v48, -v1
	s_waitcnt vmcnt(18)
	v_mul_f32_e32 v2, v7, v47
	v_mul_f32_e32 v3, v6, v47
	ds_write_b64 v67, v[0:1]
	s_waitcnt vmcnt(15)
	v_mul_f32_e32 v0, v13, v41
	v_mul_f32_e32 v1, v12, v41
	v_fmac_f32_e32 v2, v6, v46
	v_fma_f32 v3, v7, v46, -v3
	v_fmac_f32_e32 v0, v12, v40
	v_fma_f32 v1, v13, v40, -v1
	ds_write2_b64 v66, v[2:3], v[0:1] offset0:4 offset1:8
	s_waitcnt vmcnt(14)
	v_mul_f32_e32 v0, v15, v29
	v_mul_f32_e32 v1, v14, v29
	s_waitcnt vmcnt(11)
	v_mul_f32_e32 v2, v17, v43
	v_mul_f32_e32 v3, v16, v43
	v_fmac_f32_e32 v0, v14, v28
	v_fma_f32 v1, v15, v28, -v1
	v_fmac_f32_e32 v2, v16, v42
	v_fma_f32 v3, v17, v42, -v3
	ds_write2_b64 v66, v[0:1], v[2:3] offset0:12 offset1:16
	s_waitcnt vmcnt(10)
	v_mul_f32_e32 v0, v9, v31
	v_mul_f32_e32 v1, v8, v31
	;; [unrolled: 11-line block ×4, first 2 shown]
	s_waitcnt vmcnt(0)
	v_mul_f32_e32 v2, v25, v37
	v_mul_f32_e32 v3, v24, v37
	v_fmac_f32_e32 v0, v22, v34
	v_fma_f32 v1, v23, v34, -v1
	v_fmac_f32_e32 v2, v24, v36
	v_fma_f32 v3, v25, v36, -v3
	ds_write2_b64 v66, v[0:1], v[2:3] offset0:36 offset1:40
	s_waitcnt lgkmcnt(0)
	; wave barrier
	s_waitcnt lgkmcnt(0)
	ds_read_b64 v[20:21], v67
	ds_read2_b64 v[0:3], v66 offset0:4 offset1:8
	ds_read2_b64 v[4:7], v66 offset0:12 offset1:16
	;; [unrolled: 1-line block ×5, first 2 shown]
	s_waitcnt lgkmcnt(4)
	v_add_f32_e32 v22, v20, v0
	v_add_f32_e32 v23, v21, v1
	v_add_f32_e32 v22, v22, v2
	v_add_f32_e32 v23, v23, v3
	s_waitcnt lgkmcnt(3)
	v_add_f32_e32 v22, v22, v4
	v_add_f32_e32 v23, v23, v5
	v_add_f32_e32 v22, v22, v6
	v_add_f32_e32 v23, v23, v7
	;; [unrolled: 5-line block ×3, first 2 shown]
	s_waitcnt lgkmcnt(1)
	v_add_f32_e32 v22, v22, v12
	s_waitcnt lgkmcnt(0)
	v_add_f32_e32 v24, v18, v0
	v_sub_f32_e32 v0, v0, v18
	v_add_f32_e32 v23, v23, v13
	v_add_f32_e32 v22, v22, v14
	v_mul_f32_e32 v26, 0xbf0a6770, v0
	v_mul_f32_e32 v54, 0xbf68dda4, v0
	;; [unrolled: 1-line block ×5, first 2 shown]
	v_add_f32_e32 v23, v23, v15
	v_add_f32_e32 v22, v22, v16
	;; [unrolled: 1-line block ×3, first 2 shown]
	v_sub_f32_e32 v1, v1, v19
	v_mov_b32_e32 v27, v26
	v_mov_b32_e32 v55, v54
	;; [unrolled: 1-line block ×5, first 2 shown]
	v_add_f32_e32 v23, v23, v17
	v_add_f32_e32 v22, v22, v18
	v_mul_f32_e32 v18, 0xbf0a6770, v1
	v_fmac_f32_e32 v27, 0x3f575c64, v25
	v_fma_f32 v26, v25, s2, -v26
	v_mul_f32_e32 v51, 0xbf68dda4, v1
	v_fmac_f32_e32 v55, 0x3ed4b147, v25
	v_fma_f32 v54, v25, s0, -v54
	;; [unrolled: 3-line block ×5, first 2 shown]
	v_add_f32_e32 v23, v23, v19
	v_fma_f32 v19, v24, s2, -v18
	v_add_f32_e32 v27, v21, v27
	v_fmac_f32_e32 v18, 0x3f575c64, v24
	v_add_f32_e32 v26, v21, v26
	v_fma_f32 v52, v24, s0, -v51
	v_add_f32_e32 v55, v21, v55
	v_fmac_f32_e32 v51, 0x3ed4b147, v24
	;; [unrolled: 4-line block ×5, first 2 shown]
	v_add_f32_e32 v0, v21, v0
	v_add_f32_e32 v21, v17, v3
	v_sub_f32_e32 v3, v3, v17
	v_add_f32_e32 v19, v20, v19
	v_add_f32_e32 v18, v20, v18
	;; [unrolled: 1-line block ×11, first 2 shown]
	v_sub_f32_e32 v2, v2, v16
	v_mul_f32_e32 v16, 0xbf68dda4, v3
	v_fma_f32 v17, v20, s0, -v16
	v_add_f32_e32 v17, v17, v19
	v_mul_f32_e32 v19, 0xbf68dda4, v2
	v_fmac_f32_e32 v16, 0x3ed4b147, v20
	v_mov_b32_e32 v24, v19
	v_add_f32_e32 v16, v16, v18
	v_fma_f32 v18, v21, s0, -v19
	v_mul_f32_e32 v19, 0xbf4178ce, v3
	v_fma_f32 v25, v20, s3, -v19
	v_fmac_f32_e32 v19, 0xbf27a4f4, v20
	v_fmac_f32_e32 v24, 0x3ed4b147, v21
	v_add_f32_e32 v18, v18, v26
	v_mul_f32_e32 v26, 0xbf4178ce, v2
	v_add_f32_e32 v19, v19, v51
	v_mul_f32_e32 v51, 0x3e903f40, v3
	v_add_f32_e32 v24, v24, v27
	v_add_f32_e32 v25, v25, v52
	v_mov_b32_e32 v27, v26
	v_fma_f32 v26, v21, s3, -v26
	v_fma_f32 v52, v20, s14, -v51
	v_fmac_f32_e32 v51, 0xbf75a155, v20
	v_fmac_f32_e32 v27, 0xbf27a4f4, v21
	v_add_f32_e32 v26, v26, v54
	v_mul_f32_e32 v54, 0x3e903f40, v2
	v_add_f32_e32 v51, v51, v56
	v_mul_f32_e32 v56, 0x3f7d64f0, v3
	v_add_f32_e32 v27, v27, v55
	v_add_f32_e32 v52, v52, v57
	v_mov_b32_e32 v55, v54
	v_fma_f32 v54, v21, s14, -v54
	v_fma_f32 v57, v20, s1, -v56
	v_fmac_f32_e32 v56, 0xbe11bafb, v20
	v_mul_f32_e32 v3, 0x3f0a6770, v3
	v_add_f32_e32 v54, v54, v58
	v_mul_f32_e32 v58, 0x3f7d64f0, v2
	v_add_f32_e32 v56, v56, v60
	v_fma_f32 v60, v20, s2, -v3
	v_mul_f32_e32 v2, 0x3f0a6770, v2
	v_fmac_f32_e32 v3, 0x3f575c64, v20
	v_add_f32_e32 v57, v57, v62
	v_mov_b32_e32 v62, v2
	v_add_f32_e32 v1, v3, v1
	v_fma_f32 v2, v21, s2, -v2
	v_add_f32_e32 v3, v15, v5
	v_sub_f32_e32 v5, v5, v15
	v_add_f32_e32 v0, v2, v0
	v_add_f32_e32 v2, v14, v4
	v_sub_f32_e32 v4, v4, v14
	v_mul_f32_e32 v14, 0xbf7d64f0, v5
	v_fma_f32 v15, v2, s1, -v14
	v_fmac_f32_e32 v55, 0xbf75a155, v21
	v_add_f32_e32 v15, v15, v17
	v_mul_f32_e32 v17, 0xbf7d64f0, v4
	v_fmac_f32_e32 v14, 0xbe11bafb, v2
	v_add_f32_e32 v55, v55, v59
	v_mov_b32_e32 v59, v58
	v_mov_b32_e32 v20, v17
	v_add_f32_e32 v14, v14, v16
	v_fma_f32 v16, v3, s1, -v17
	v_mul_f32_e32 v17, 0x3e903f40, v5
	v_fmac_f32_e32 v59, 0xbe11bafb, v21
	v_fma_f32 v58, v21, s1, -v58
	v_fmac_f32_e32 v62, 0x3f575c64, v21
	v_fmac_f32_e32 v20, 0xbe11bafb, v3
	v_add_f32_e32 v16, v16, v18
	v_fma_f32 v18, v2, s14, -v17
	v_mul_f32_e32 v21, 0x3e903f40, v4
	v_fmac_f32_e32 v17, 0xbf75a155, v2
	v_add_f32_e32 v20, v20, v24
	v_mov_b32_e32 v24, v21
	v_add_f32_e32 v17, v17, v19
	v_fma_f32 v19, v3, s14, -v21
	v_mul_f32_e32 v21, 0x3f68dda4, v5
	v_add_f32_e32 v18, v18, v25
	v_fma_f32 v25, v2, s0, -v21
	v_fmac_f32_e32 v21, 0x3ed4b147, v2
	v_fmac_f32_e32 v24, 0xbf75a155, v3
	v_add_f32_e32 v19, v19, v26
	v_mul_f32_e32 v26, 0x3f68dda4, v4
	v_add_f32_e32 v21, v21, v51
	v_mul_f32_e32 v51, 0xbf0a6770, v5
	v_add_f32_e32 v24, v24, v27
	v_add_f32_e32 v25, v25, v52
	v_mov_b32_e32 v27, v26
	v_fma_f32 v26, v3, s0, -v26
	v_fma_f32 v52, v2, s2, -v51
	v_fmac_f32_e32 v51, 0x3f575c64, v2
	v_mul_f32_e32 v5, 0xbf4178ce, v5
	v_add_f32_e32 v26, v26, v54
	v_mul_f32_e32 v54, 0xbf0a6770, v4
	v_add_f32_e32 v51, v51, v56
	v_fma_f32 v56, v2, s3, -v5
	v_mul_f32_e32 v4, 0xbf4178ce, v4
	v_fmac_f32_e32 v5, 0xbf27a4f4, v2
	v_fmac_f32_e32 v27, 0x3ed4b147, v3
	v_add_f32_e32 v1, v5, v1
	v_fma_f32 v2, v3, s3, -v4
	v_sub_f32_e32 v5, v7, v13
	v_add_f32_e32 v27, v27, v55
	v_add_f32_e32 v52, v52, v57
	v_mov_b32_e32 v55, v54
	v_mov_b32_e32 v57, v4
	v_add_f32_e32 v0, v2, v0
	v_add_f32_e32 v2, v12, v6
	v_sub_f32_e32 v4, v6, v12
	v_mul_f32_e32 v6, 0xbf4178ce, v5
	v_fmac_f32_e32 v55, 0x3f575c64, v3
	v_fma_f32 v54, v3, s2, -v54
	v_fmac_f32_e32 v57, 0xbf27a4f4, v3
	v_add_f32_e32 v3, v13, v7
	v_fma_f32 v7, v2, s3, -v6
	v_mul_f32_e32 v12, 0xbf4178ce, v4
	v_fmac_f32_e32 v6, 0xbf27a4f4, v2
	v_mov_b32_e32 v13, v12
	v_add_f32_e32 v6, v6, v14
	v_fma_f32 v12, v3, s3, -v12
	v_mul_f32_e32 v14, 0x3f7d64f0, v5
	v_add_f32_e32 v7, v7, v15
	v_add_f32_e32 v12, v12, v16
	v_fma_f32 v15, v2, s1, -v14
	v_mul_f32_e32 v16, 0x3f7d64f0, v4
	v_add_f32_e32 v15, v15, v18
	v_mov_b32_e32 v18, v16
	v_fma_f32 v16, v3, s1, -v16
	v_fmac_f32_e32 v14, 0xbe11bafb, v2
	v_add_f32_e32 v19, v16, v19
	v_mul_f32_e32 v16, 0xbf0a6770, v5
	v_fmac_f32_e32 v13, 0xbf27a4f4, v3
	v_add_f32_e32 v14, v14, v17
	v_fma_f32 v17, v2, s2, -v16
	v_add_f32_e32 v13, v13, v20
	v_add_f32_e32 v20, v17, v25
	v_mul_f32_e32 v17, 0xbf0a6770, v4
	v_fmac_f32_e32 v16, 0x3f575c64, v2
	v_add_f32_e32 v21, v16, v21
	v_fma_f32 v16, v3, s2, -v17
	v_fmac_f32_e32 v18, 0xbe11bafb, v3
	v_add_f32_e32 v25, v16, v26
	v_mul_f32_e32 v16, 0xbe903f40, v5
	v_add_f32_e32 v18, v18, v24
	v_mov_b32_e32 v24, v17
	v_fma_f32 v17, v2, s14, -v16
	v_add_f32_e32 v58, v58, v64
	v_add_f32_e32 v26, v17, v52
	v_mul_f32_e32 v17, 0xbe903f40, v4
	v_fmac_f32_e32 v16, 0xbf75a155, v2
	v_add_f32_e32 v60, v60, v69
	v_add_f32_e32 v54, v54, v58
	;; [unrolled: 1-line block ×3, first 2 shown]
	v_fma_f32 v16, v3, s14, -v17
	v_mul_f32_e32 v5, 0x3f68dda4, v5
	v_add_f32_e32 v56, v56, v60
	v_fmac_f32_e32 v24, 0x3f575c64, v3
	v_add_f32_e32 v52, v16, v54
	v_fma_f32 v16, v2, s0, -v5
	v_mul_f32_e32 v4, 0x3f68dda4, v4
	v_add_f32_e32 v59, v59, v68
	v_add_f32_e32 v62, v62, v70
	v_add_f32_e32 v24, v24, v27
	v_mov_b32_e32 v27, v17
	v_add_f32_e32 v54, v16, v56
	v_mov_b32_e32 v16, v4
	v_fmac_f32_e32 v5, 0x3ed4b147, v2
	v_add_f32_e32 v58, v10, v8
	v_sub_f32_e32 v60, v8, v10
	v_sub_f32_e32 v10, v9, v11
	v_add_f32_e32 v55, v55, v59
	v_add_f32_e32 v57, v57, v62
	v_fmac_f32_e32 v27, 0xbf75a155, v3
	v_fmac_f32_e32 v16, 0x3ed4b147, v3
	v_add_f32_e32 v56, v5, v1
	v_fma_f32 v1, v3, s0, -v4
	v_mul_f32_e32 v2, 0xbe903f40, v10
	v_add_f32_e32 v27, v27, v55
	v_add_f32_e32 v55, v16, v57
	;; [unrolled: 1-line block ×4, first 2 shown]
	v_fma_f32 v0, v58, s14, -v2
	v_mul_f32_e32 v3, 0xbe903f40, v60
	v_fmac_f32_e32 v2, 0xbf75a155, v58
	v_add_f32_e32 v16, v2, v6
	v_fma_f32 v2, v59, s14, -v3
	v_mul_f32_e32 v4, 0x3f0a6770, v10
	v_add_f32_e32 v17, v2, v12
	v_fma_f32 v2, v58, s2, -v4
	v_mul_f32_e32 v5, 0x3f0a6770, v60
	v_fmac_f32_e32 v4, 0x3f575c64, v58
	v_mov_b32_e32 v1, v3
	v_mov_b32_e32 v3, v5
	v_add_f32_e32 v14, v4, v14
	v_fma_f32 v4, v59, s2, -v5
	v_mul_f32_e32 v6, 0xbf4178ce, v10
	v_add_f32_e32 v0, v0, v7
	v_add_f32_e32 v2, v2, v15
	v_fmac_f32_e32 v3, 0x3f575c64, v59
	v_add_f32_e32 v15, v4, v19
	v_fma_f32 v4, v58, s3, -v6
	v_mul_f32_e32 v7, 0xbf4178ce, v60
	v_fmac_f32_e32 v6, 0xbf27a4f4, v58
	v_mul_f32_e32 v9, 0x3f68dda4, v60
	v_mul_f32_e32 v19, 0xbf7d64f0, v60
	v_fmac_f32_e32 v1, 0xbf75a155, v59
	v_add_f32_e32 v3, v3, v18
	v_add_f32_e32 v4, v4, v20
	v_mov_b32_e32 v5, v7
	v_add_f32_e32 v12, v6, v21
	v_fma_f32 v6, v59, s3, -v7
	v_mul_f32_e32 v8, 0x3f68dda4, v10
	v_mov_b32_e32 v7, v9
	v_mul_f32_e32 v18, 0xbf7d64f0, v10
	v_mov_b32_e32 v11, v19
	v_mul_u32_u24_e32 v20, 11, v65
	v_add_f32_e32 v1, v1, v13
	v_fmac_f32_e32 v5, 0xbf27a4f4, v59
	v_add_f32_e32 v13, v6, v25
	v_fma_f32 v6, v58, s0, -v8
	v_fmac_f32_e32 v7, 0x3ed4b147, v59
	v_fmac_f32_e32 v8, 0x3ed4b147, v58
	v_fma_f32 v9, v59, s0, -v9
	v_fma_f32 v10, v58, s1, -v18
	v_fmac_f32_e32 v11, 0xbe11bafb, v59
	v_fmac_f32_e32 v18, 0xbe11bafb, v58
	v_fma_f32 v19, v59, s1, -v19
	v_add_lshl_u32 v62, v63, v20, 3
	v_add_f32_e32 v5, v5, v24
	v_add_f32_e32 v6, v6, v26
	;; [unrolled: 1-line block ×9, first 2 shown]
	s_waitcnt lgkmcnt(0)
	; wave barrier
	ds_write2_b64 v62, v[22:23], v[0:1] offset1:1
	ds_write2_b64 v62, v[2:3], v[4:5] offset0:2 offset1:3
	ds_write2_b64 v62, v[6:7], v[10:11] offset0:4 offset1:5
	;; [unrolled: 1-line block ×4, first 2 shown]
	ds_write_b64 v62, v[16:17] offset:80
	s_waitcnt lgkmcnt(0)
	; wave barrier
	s_waitcnt lgkmcnt(0)
	ds_read2_b64 v[20:23], v66 offset0:4 offset1:11
	ds_read2_b64 v[24:27], v66 offset0:15 offset1:22
	;; [unrolled: 1-line block ×3, first 2 shown]
	ds_read_b64 v[57:58], v67
	ds_read_b64 v[51:52], v66 offset:296
	v_add_co_u32_e32 v59, vcc, s8, v61
	v_addc_co_u32_e32 v60, vcc, 0, v53, vcc
	v_cmp_eq_u32_e64 s[0:1], 3, v65
	v_cmp_ne_u32_e32 vcc, 3, v65
	s_and_saveexec_b64 s[2:3], vcc
	s_cbranch_execz .LBB0_3
; %bb.2:
	ds_read2_b64 v[12:15], v66 offset0:8 offset1:19
	ds_read2_b64 v[16:19], v66 offset0:30 offset1:41
.LBB0_3:
	s_or_b64 exec, exec, s[2:3]
	v_mad_u64_u32 v[68:69], s[2:3], v65, 24, s[10:11]
	v_or_b32_e32 v64, 8, v65
	global_load_dwordx2 v[53:54], v[68:69], off offset:16
	global_load_dwordx4 v[4:7], v[68:69], off
	s_waitcnt vmcnt(1) lgkmcnt(2)
	v_mul_f32_e32 v73, v2, v54
	s_waitcnt vmcnt(0)
	v_mul_f32_e32 v8, v23, v5
	v_fma_f32 v70, v22, v4, -v8
	v_mul_f32_e32 v8, v27, v7
	v_fma_f32 v72, v26, v6, -v8
	v_mul_f32_e32 v26, v26, v7
	v_mul_f32_e32 v8, v3, v54
	v_fmac_f32_e32 v26, v27, v6
	v_fma_f32 v27, v2, v53, -v8
	global_load_dwordx2 v[55:56], v[68:69], off offset:112
	global_load_dwordx4 v[8:11], v[68:69], off offset:96
	v_mul_f32_e32 v71, v22, v5
	v_fmac_f32_e32 v71, v23, v4
	v_fmac_f32_e32 v73, v3, v53
	v_sub_f32_e32 v27, v70, v27
	s_waitcnt vmcnt(1) lgkmcnt(0)
	v_mul_f32_e32 v79, v51, v56
	s_waitcnt vmcnt(0)
	v_mul_f32_e32 v2, v25, v9
	v_fma_f32 v74, v24, v8, -v2
	v_mul_f32_e32 v2, v1, v11
	v_fma_f32 v76, v0, v10, -v2
	v_mul_f32_e32 v77, v0, v11
	v_mul_f32_e32 v0, v52, v56
	v_fma_f32 v78, v51, v55, -v0
	v_mul_hi_u32_u24_e32 v0, 3, v64
	v_mul_u32_u24_e32 v2, 3, v64
	v_fmac_f32_e32 v77, v1, v10
	v_cndmask_b32_e64 v1, v0, 0, s[0:1]
	v_cndmask_b32_e64 v0, v2, 0, s[0:1]
	v_lshlrev_b64 v[0:1], 3, v[0:1]
	v_fmac_f32_e32 v79, v52, v55
	v_add_co_u32_e64 v22, s[0:1], s10, v0
	v_mov_b32_e32 v0, s11
	v_addc_co_u32_e64 v23, s[0:1], v0, v1, s[0:1]
	global_load_dwordx2 v[51:52], v[22:23], off offset:16
	global_load_dwordx4 v[0:3], v[22:23], off
	v_mul_f32_e32 v75, v24, v9
	v_fmac_f32_e32 v75, v25, v8
	v_fma_f32 v23, v70, 2.0, -v27
	s_waitcnt vmcnt(0)
	v_mul_f32_e32 v22, v15, v1
	v_fma_f32 v22, v14, v0, -v22
	v_mul_f32_e32 v14, v14, v1
	v_fmac_f32_e32 v14, v15, v0
	v_mul_f32_e32 v15, v17, v3
	v_fma_f32 v15, v16, v2, -v15
	v_mul_f32_e32 v16, v16, v3
	v_fmac_f32_e32 v16, v17, v2
	v_mul_f32_e32 v17, v19, v52
	v_fma_f32 v64, v18, v51, -v17
	v_sub_f32_e32 v17, v57, v72
	v_mul_f32_e32 v18, v18, v52
	v_fma_f32 v25, v57, 2.0, -v17
	v_sub_f32_e32 v57, v71, v73
	v_fmac_f32_e32 v18, v19, v51
	v_sub_f32_e32 v19, v58, v26
	v_sub_f32_e32 v68, v17, v57
	v_fma_f32 v26, v58, 2.0, -v19
	v_add_f32_e32 v69, v19, v27
	v_fma_f32 v70, v17, 2.0, -v68
	v_sub_f32_e32 v17, v20, v76
	v_sub_f32_e32 v58, v74, v78
	;; [unrolled: 1-line block ×3, first 2 shown]
	v_fma_f32 v24, v71, 2.0, -v57
	v_fma_f32 v71, v19, 2.0, -v69
	v_sub_f32_e32 v27, v21, v77
	v_fma_f32 v57, v20, 2.0, -v17
	v_fma_f32 v19, v74, 2.0, -v58
	v_sub_f32_e32 v74, v17, v76
	v_sub_f32_e32 v23, v25, v23
	;; [unrolled: 1-line block ×3, first 2 shown]
	v_fma_f32 v21, v21, 2.0, -v27
	v_fma_f32 v20, v75, 2.0, -v76
	v_sub_f32_e32 v19, v57, v19
	v_fma_f32 v76, v17, 2.0, -v74
	v_sub_f32_e32 v15, v12, v15
	v_sub_f32_e32 v17, v13, v16
	;; [unrolled: 1-line block ×4, first 2 shown]
	v_fma_f32 v25, v25, 2.0, -v23
	v_fma_f32 v26, v26, 2.0, -v24
	v_sub_f32_e32 v20, v21, v20
	v_fma_f32 v72, v57, 2.0, -v19
	v_add_f32_e32 v75, v27, v58
	v_sub_f32_e32 v57, v15, v18
	v_add_f32_e32 v58, v17, v16
	v_fma_f32 v73, v21, 2.0, -v20
	v_fma_f32 v77, v27, 2.0, -v75
	ds_write_b64 v67, v[25:26]
	ds_write2_b64 v66, v[72:73], v[70:71] offset0:4 offset1:11
	ds_write2_b64 v66, v[76:77], v[23:24] offset0:15 offset1:22
	;; [unrolled: 1-line block ×3, first 2 shown]
	ds_write_b64 v66, v[74:75] offset:296
	s_and_saveexec_b64 s[0:1], vcc
	s_cbranch_execz .LBB0_5
; %bb.4:
	v_fma_f32 v20, v17, 2.0, -v58
	v_fma_f32 v17, v13, 2.0, -v17
	;; [unrolled: 1-line block ×5, first 2 shown]
	v_sub_f32_e32 v13, v17, v13
	v_sub_f32_e32 v12, v14, v12
	v_fma_f32 v19, v15, 2.0, -v57
	v_fma_f32 v17, v17, 2.0, -v13
	;; [unrolled: 1-line block ×3, first 2 shown]
	ds_write2_b64 v66, v[16:17], v[19:20] offset0:8 offset1:19
	ds_write2_b64 v66, v[12:13], v[57:58] offset0:30 offset1:41
.LBB0_5:
	s_or_b64 exec, exec, s[0:1]
	s_waitcnt lgkmcnt(0)
	; wave barrier
	s_waitcnt lgkmcnt(0)
	global_load_dwordx2 v[12:13], v[59:60], off offset:352
	s_add_u32 s0, s8, 0x160
	s_addc_u32 s1, s9, 0
	global_load_dwordx2 v[59:60], v61, s[0:1] offset:32
	global_load_dwordx2 v[69:70], v61, s[0:1] offset:64
	;; [unrolled: 1-line block ×10, first 2 shown]
	ds_read_b64 v[14:15], v67
	v_lshl_add_u32 v68, v63, 3, v61
	s_mov_b32 s2, 0x3f575c64
	s_mov_b32 s0, 0x3ed4b147
	;; [unrolled: 1-line block ×5, first 2 shown]
	s_waitcnt vmcnt(10) lgkmcnt(0)
	v_mul_f32_e32 v16, v15, v13
	v_mul_f32_e32 v17, v14, v13
	v_fma_f32 v16, v14, v12, -v16
	v_fmac_f32_e32 v17, v15, v12
	ds_write_b64 v67, v[16:17]
	ds_read2_b64 v[12:15], v66 offset0:4 offset1:12
	ds_read2_b64 v[16:19], v66 offset0:16 offset1:20
	ds_read2_b64 v[20:23], v66 offset0:24 offset1:28
	ds_read_b64 v[63:64], v68 offset:64
	ds_read2_b64 v[24:27], v66 offset0:32 offset1:36
	ds_read_b64 v[87:88], v66 offset:320
	s_waitcnt vmcnt(9) lgkmcnt(5)
	v_mul_f32_e32 v89, v13, v60
	s_waitcnt vmcnt(7)
	v_mul_f32_e32 v92, v15, v72
	s_waitcnt lgkmcnt(2)
	v_mul_f32_e32 v91, v64, v70
	v_mul_f32_e32 v90, v63, v70
	;; [unrolled: 1-line block ×4, first 2 shown]
	s_waitcnt vmcnt(6)
	v_mul_f32_e32 v93, v17, v74
	v_mul_f32_e32 v72, v16, v74
	s_waitcnt vmcnt(5)
	v_mul_f32_e32 v94, v19, v76
	v_mul_f32_e32 v74, v18, v76
	;; [unrolled: 3-line block ×4, first 2 shown]
	s_waitcnt vmcnt(2) lgkmcnt(1)
	v_mul_f32_e32 v97, v25, v82
	v_mul_f32_e32 v80, v24, v82
	s_waitcnt vmcnt(1)
	v_mul_f32_e32 v98, v27, v84
	v_mul_f32_e32 v82, v26, v84
	s_waitcnt vmcnt(0) lgkmcnt(0)
	v_mul_f32_e32 v99, v88, v86
	v_mul_f32_e32 v84, v87, v86
	v_fma_f32 v60, v12, v59, -v89
	v_fma_f32 v89, v63, v69, -v91
	v_fmac_f32_e32 v90, v64, v69
	v_fma_f32 v69, v14, v71, -v92
	v_fmac_f32_e32 v70, v15, v71
	v_fmac_f32_e32 v61, v13, v59
	v_fma_f32 v71, v16, v73, -v93
	v_fmac_f32_e32 v72, v17, v73
	v_fma_f32 v73, v18, v75, -v94
	;; [unrolled: 2-line block ×7, first 2 shown]
	v_fmac_f32_e32 v84, v88, v85
	ds_write_b64 v68, v[89:90] offset:64
	ds_write2_b64 v66, v[60:61], v[69:70] offset0:4 offset1:12
	ds_write2_b64 v66, v[71:72], v[73:74] offset0:16 offset1:20
	;; [unrolled: 1-line block ×4, first 2 shown]
	ds_write_b64 v66, v[83:84] offset:320
	s_waitcnt lgkmcnt(0)
	; wave barrier
	s_waitcnt lgkmcnt(0)
	ds_read_b64 v[59:60], v67
	ds_read2_b64 v[12:15], v66 offset0:4 offset1:12
	ds_read2_b64 v[16:19], v66 offset0:16 offset1:20
	ds_read_b64 v[63:64], v68 offset:64
	ds_read_b64 v[69:70], v66 offset:320
	ds_read2_b64 v[20:23], v66 offset0:24 offset1:28
	ds_read2_b64 v[24:27], v66 offset0:32 offset1:36
	s_waitcnt lgkmcnt(5)
	v_add_f32_e32 v71, v60, v13
	v_add_f32_e32 v61, v59, v12
	s_waitcnt lgkmcnt(3)
	v_add_f32_e32 v71, v71, v64
	v_add_f32_e32 v61, v61, v63
	v_add_f32_e32 v71, v71, v15
	v_add_f32_e32 v61, v61, v14
	v_add_f32_e32 v71, v71, v17
	v_add_f32_e32 v61, v61, v16
	v_add_f32_e32 v71, v71, v19
	v_add_f32_e32 v61, v61, v18
	s_waitcnt lgkmcnt(1)
	v_add_f32_e32 v71, v71, v21
	v_add_f32_e32 v61, v61, v20
	;; [unrolled: 1-line block ×4, first 2 shown]
	s_waitcnt lgkmcnt(0)
	v_add_f32_e32 v71, v71, v25
	v_add_f32_e32 v74, v70, v13
	;; [unrolled: 1-line block ×6, first 2 shown]
	v_sub_f32_e32 v13, v13, v70
	v_mul_f32_e32 v70, 0x3f575c64, v74
	v_mul_f32_e32 v78, 0x3ed4b147, v74
	;; [unrolled: 1-line block ×5, first 2 shown]
	v_add_f32_e32 v73, v69, v12
	v_add_f32_e32 v71, v61, v69
	v_sub_f32_e32 v12, v12, v69
	v_mul_f32_e32 v61, 0xbf0a6770, v13
	v_mov_b32_e32 v75, v70
	v_mul_f32_e32 v76, 0xbf68dda4, v13
	v_mov_b32_e32 v79, v78
	;; [unrolled: 2-line block ×5, first 2 shown]
	v_mov_b32_e32 v69, v61
	v_fmac_f32_e32 v75, 0x3f0a6770, v12
	v_fmac_f32_e32 v70, 0xbf0a6770, v12
	v_mov_b32_e32 v77, v76
	v_fmac_f32_e32 v79, 0x3f68dda4, v12
	v_fmac_f32_e32 v78, 0xbf68dda4, v12
	;; [unrolled: 3-line block ×5, first 2 shown]
	v_fmac_f32_e32 v69, 0x3f575c64, v73
	v_add_f32_e32 v75, v60, v75
	v_fma_f32 v61, v73, s2, -v61
	v_add_f32_e32 v70, v60, v70
	v_fmac_f32_e32 v77, 0x3ed4b147, v73
	v_add_f32_e32 v79, v60, v79
	v_fma_f32 v76, v73, s0, -v76
	v_add_f32_e32 v78, v60, v78
	;; [unrolled: 4-line block ×5, first 2 shown]
	v_add_f32_e32 v60, v27, v64
	v_sub_f32_e32 v27, v64, v27
	v_add_f32_e32 v69, v59, v69
	v_add_f32_e32 v61, v59, v61
	;; [unrolled: 1-line block ×11, first 2 shown]
	v_sub_f32_e32 v26, v63, v26
	v_mul_f32_e32 v63, 0xbf68dda4, v27
	v_mov_b32_e32 v64, v63
	v_fmac_f32_e32 v64, 0x3ed4b147, v59
	v_add_f32_e32 v64, v64, v69
	v_mul_f32_e32 v69, 0x3ed4b147, v60
	v_mov_b32_e32 v73, v69
	v_fma_f32 v63, v59, s0, -v63
	v_fmac_f32_e32 v69, 0xbf68dda4, v26
	v_add_f32_e32 v61, v63, v61
	v_add_f32_e32 v63, v69, v70
	v_mul_f32_e32 v69, 0xbf4178ce, v27
	v_mov_b32_e32 v70, v69
	v_fma_f32 v69, v59, s3, -v69
	v_fmac_f32_e32 v73, 0x3f68dda4, v26
	v_fmac_f32_e32 v70, 0xbf27a4f4, v59
	v_mul_f32_e32 v74, 0xbf27a4f4, v60
	v_add_f32_e32 v69, v69, v76
	v_mul_f32_e32 v76, 0x3e903f40, v27
	v_add_f32_e32 v73, v73, v75
	v_add_f32_e32 v70, v70, v77
	v_mov_b32_e32 v75, v74
	v_fmac_f32_e32 v74, 0xbf4178ce, v26
	v_mov_b32_e32 v77, v76
	v_fma_f32 v76, v59, s8, -v76
	v_fmac_f32_e32 v75, 0x3f4178ce, v26
	v_add_f32_e32 v74, v74, v78
	v_fmac_f32_e32 v77, 0xbf75a155, v59
	v_mul_f32_e32 v78, 0xbf75a155, v60
	v_add_f32_e32 v76, v76, v80
	v_mul_f32_e32 v80, 0x3f7d64f0, v27
	v_add_f32_e32 v75, v75, v79
	v_add_f32_e32 v77, v77, v81
	v_mov_b32_e32 v79, v78
	v_fmac_f32_e32 v78, 0x3e903f40, v26
	v_mov_b32_e32 v81, v80
	v_fma_f32 v80, v59, s1, -v80
	v_mul_f32_e32 v27, 0x3f0a6770, v27
	v_fmac_f32_e32 v79, 0xbe903f40, v26
	v_add_f32_e32 v78, v78, v82
	v_fmac_f32_e32 v81, 0xbe11bafb, v59
	v_mul_f32_e32 v82, 0xbe11bafb, v60
	v_add_f32_e32 v80, v80, v84
	v_mov_b32_e32 v84, v27
	v_mul_f32_e32 v60, 0x3f575c64, v60
	v_fma_f32 v27, v59, s2, -v27
	v_add_f32_e32 v79, v79, v83
	v_add_f32_e32 v81, v81, v85
	v_mov_b32_e32 v83, v82
	v_mov_b32_e32 v85, v60
	v_add_f32_e32 v13, v27, v13
	v_add_f32_e32 v27, v25, v15
	v_sub_f32_e32 v15, v15, v25
	v_fmac_f32_e32 v83, 0xbf7d64f0, v26
	v_fmac_f32_e32 v82, 0x3f7d64f0, v26
	;; [unrolled: 1-line block ×4, first 2 shown]
	v_add_f32_e32 v26, v24, v14
	v_sub_f32_e32 v14, v14, v24
	v_mul_f32_e32 v24, 0xbf7d64f0, v15
	v_fmac_f32_e32 v84, 0x3f575c64, v59
	v_mov_b32_e32 v25, v24
	v_mul_f32_e32 v59, 0xbe11bafb, v27
	v_fma_f32 v24, v26, s1, -v24
	v_add_f32_e32 v12, v60, v12
	v_mov_b32_e32 v60, v59
	v_add_f32_e32 v24, v24, v61
	v_fmac_f32_e32 v59, 0xbf7d64f0, v14
	v_mul_f32_e32 v61, 0x3e903f40, v15
	v_fmac_f32_e32 v25, 0xbe11bafb, v26
	v_add_f32_e32 v59, v59, v63
	v_mov_b32_e32 v63, v61
	v_fma_f32 v61, v26, s8, -v61
	v_add_f32_e32 v25, v25, v64
	v_fmac_f32_e32 v60, 0x3f7d64f0, v14
	v_fmac_f32_e32 v63, 0xbf75a155, v26
	v_mul_f32_e32 v64, 0xbf75a155, v27
	v_add_f32_e32 v61, v61, v69
	v_mul_f32_e32 v69, 0x3f68dda4, v15
	v_add_f32_e32 v60, v60, v73
	v_add_f32_e32 v63, v63, v70
	v_mov_b32_e32 v70, v64
	v_fmac_f32_e32 v64, 0x3e903f40, v14
	v_mov_b32_e32 v73, v69
	v_fma_f32 v69, v26, s0, -v69
	v_fmac_f32_e32 v70, 0xbe903f40, v14
	v_add_f32_e32 v64, v64, v74
	v_fmac_f32_e32 v73, 0x3ed4b147, v26
	v_mul_f32_e32 v74, 0x3ed4b147, v27
	v_add_f32_e32 v69, v69, v76
	v_mul_f32_e32 v76, 0xbf0a6770, v15
	v_add_f32_e32 v70, v70, v75
	v_add_f32_e32 v73, v73, v77
	v_mov_b32_e32 v75, v74
	v_fmac_f32_e32 v74, 0x3f68dda4, v14
	v_mov_b32_e32 v77, v76
	v_fma_f32 v76, v26, s2, -v76
	v_mul_f32_e32 v15, 0xbf4178ce, v15
	v_fmac_f32_e32 v75, 0xbf68dda4, v14
	v_add_f32_e32 v74, v74, v78
	v_fmac_f32_e32 v77, 0x3f575c64, v26
	v_mul_f32_e32 v78, 0x3f575c64, v27
	v_add_f32_e32 v76, v76, v80
	v_mov_b32_e32 v80, v15
	v_mul_f32_e32 v27, 0xbf27a4f4, v27
	v_fma_f32 v15, v26, s3, -v15
	v_add_f32_e32 v75, v75, v79
	v_add_f32_e32 v77, v77, v81
	v_mov_b32_e32 v79, v78
	v_mov_b32_e32 v81, v27
	v_add_f32_e32 v13, v15, v13
	v_add_f32_e32 v15, v23, v17
	v_sub_f32_e32 v17, v17, v23
	v_fmac_f32_e32 v79, 0x3f0a6770, v14
	v_fmac_f32_e32 v78, 0xbf0a6770, v14
	;; [unrolled: 1-line block ×4, first 2 shown]
	v_add_f32_e32 v14, v22, v16
	v_sub_f32_e32 v16, v16, v22
	v_mul_f32_e32 v22, 0xbf4178ce, v17
	v_mov_b32_e32 v23, v22
	v_fmac_f32_e32 v23, 0xbf27a4f4, v14
	v_add_f32_e32 v23, v23, v25
	v_mul_f32_e32 v25, 0xbf27a4f4, v15
	v_fmac_f32_e32 v80, 0xbf27a4f4, v26
	v_mov_b32_e32 v26, v25
	v_fma_f32 v22, v14, s3, -v22
	v_fmac_f32_e32 v25, 0xbf4178ce, v16
	v_add_f32_e32 v22, v22, v24
	v_add_f32_e32 v24, v25, v59
	v_mul_f32_e32 v25, 0x3f7d64f0, v17
	v_add_f32_e32 v12, v27, v12
	v_fmac_f32_e32 v26, 0x3f4178ce, v16
	v_mov_b32_e32 v27, v25
	v_mul_f32_e32 v59, 0xbe11bafb, v15
	v_fma_f32 v25, v14, s1, -v25
	v_add_f32_e32 v26, v26, v60
	v_fmac_f32_e32 v27, 0xbe11bafb, v14
	v_mov_b32_e32 v60, v59
	v_add_f32_e32 v25, v25, v61
	v_fmac_f32_e32 v59, 0x3f7d64f0, v16
	v_mul_f32_e32 v61, 0xbf0a6770, v17
	v_add_f32_e32 v27, v27, v63
	v_fmac_f32_e32 v60, 0xbf7d64f0, v16
	v_add_f32_e32 v59, v59, v64
	v_mov_b32_e32 v63, v61
	v_mul_f32_e32 v64, 0x3f575c64, v15
	v_fma_f32 v61, v14, s2, -v61
	v_add_f32_e32 v60, v60, v70
	v_fmac_f32_e32 v63, 0x3f575c64, v14
	v_mov_b32_e32 v70, v64
	v_add_f32_e32 v61, v61, v69
	v_fmac_f32_e32 v64, 0xbf0a6770, v16
	v_mul_f32_e32 v69, 0xbe903f40, v17
	v_add_f32_e32 v63, v63, v73
	v_fmac_f32_e32 v70, 0x3f0a6770, v16
	v_add_f32_e32 v64, v64, v74
	v_mov_b32_e32 v73, v69
	v_mul_f32_e32 v74, 0xbf75a155, v15
	v_add_f32_e32 v83, v83, v87
	v_add_f32_e32 v70, v70, v75
	v_fmac_f32_e32 v73, 0xbf75a155, v14
	v_mov_b32_e32 v75, v74
	v_fma_f32 v69, v14, s8, -v69
	v_mul_f32_e32 v17, 0x3f68dda4, v17
	v_mul_f32_e32 v15, 0x3ed4b147, v15
	v_add_f32_e32 v82, v82, v86
	v_add_f32_e32 v84, v84, v88
	;; [unrolled: 1-line block ×4, first 2 shown]
	v_fmac_f32_e32 v75, 0x3e903f40, v16
	v_add_f32_e32 v69, v69, v76
	v_mov_b32_e32 v76, v17
	v_mov_b32_e32 v77, v15
	v_fmac_f32_e32 v15, 0x3f68dda4, v16
	v_sub_f32_e32 v83, v19, v21
	v_add_f32_e32 v85, v85, v89
	v_add_f32_e32 v78, v78, v82
	;; [unrolled: 1-line block ×4, first 2 shown]
	v_fmac_f32_e32 v74, 0xbe903f40, v16
	v_fmac_f32_e32 v76, 0x3ed4b147, v14
	v_fma_f32 v14, v14, s0, -v17
	v_add_f32_e32 v79, v15, v12
	v_mul_f32_e32 v12, 0xbe903f40, v83
	v_add_f32_e32 v81, v81, v85
	v_add_f32_e32 v74, v74, v78
	;; [unrolled: 1-line block ×3, first 2 shown]
	v_fmac_f32_e32 v77, 0xbf68dda4, v16
	v_add_f32_e32 v78, v14, v13
	v_add_f32_e32 v80, v20, v18
	v_mov_b32_e32 v13, v12
	v_add_f32_e32 v77, v77, v81
	v_add_f32_e32 v81, v21, v19
	v_fmac_f32_e32 v13, 0xbf75a155, v80
	v_add_f32_e32 v16, v13, v23
	v_mul_f32_e32 v13, 0xbf75a155, v81
	v_sub_f32_e32 v82, v18, v20
	v_mov_b32_e32 v14, v13
	v_fmac_f32_e32 v14, 0x3e903f40, v82
	v_fma_f32 v12, v80, s8, -v12
	v_add_f32_e32 v17, v14, v26
	v_add_f32_e32 v14, v12, v22
	v_fmac_f32_e32 v13, 0xbe903f40, v82
	v_mul_f32_e32 v12, 0x3f0a6770, v83
	v_add_f32_e32 v15, v13, v24
	v_mov_b32_e32 v13, v12
	v_fmac_f32_e32 v13, 0x3f575c64, v80
	v_add_f32_e32 v18, v13, v27
	v_mul_f32_e32 v13, 0x3f575c64, v81
	v_mov_b32_e32 v19, v13
	v_mul_f32_e32 v22, 0xbf4178ce, v83
	v_mul_f32_e32 v23, 0xbf27a4f4, v81
	v_fmac_f32_e32 v19, 0xbf0a6770, v82
	v_fma_f32 v12, v80, s2, -v12
	v_fmac_f32_e32 v13, 0x3f0a6770, v82
	v_mov_b32_e32 v20, v22
	v_mov_b32_e32 v21, v23
	v_fma_f32 v22, v80, s3, -v22
	v_fmac_f32_e32 v23, 0xbf4178ce, v82
	v_add_f32_e32 v19, v19, v60
	v_add_f32_e32 v12, v12, v25
	;; [unrolled: 1-line block ×5, first 2 shown]
	v_mul_f32_e32 v24, 0x3f68dda4, v83
	v_mul_f32_e32 v25, 0x3ed4b147, v81
	;; [unrolled: 1-line block ×4, first 2 shown]
	v_mov_b32_e32 v22, v24
	v_mov_b32_e32 v23, v25
	;; [unrolled: 1-line block ×4, first 2 shown]
	v_fmac_f32_e32 v20, 0xbf27a4f4, v80
	v_fmac_f32_e32 v21, 0x3f4178ce, v82
	;; [unrolled: 1-line block ×4, first 2 shown]
	v_fma_f32 v24, v80, s0, -v24
	v_fmac_f32_e32 v25, 0x3f68dda4, v82
	v_fmac_f32_e32 v26, 0xbe11bafb, v80
	;; [unrolled: 1-line block ×3, first 2 shown]
	v_fma_f32 v61, v80, s1, -v61
	v_fmac_f32_e32 v64, 0xbf7d64f0, v82
	v_add_f32_e32 v20, v20, v63
	v_add_f32_e32 v21, v21, v70
	v_add_f32_e32 v22, v22, v73
	v_add_f32_e32 v23, v23, v75
	v_add_f32_e32 v24, v24, v69
	v_add_f32_e32 v25, v25, v74
	v_add_f32_e32 v26, v26, v76
	v_add_f32_e32 v27, v27, v77
	v_add_f32_e32 v63, v61, v78
	v_add_f32_e32 v64, v64, v79
	s_waitcnt lgkmcnt(0)
	; wave barrier
	ds_write2_b64 v62, v[71:72], v[16:17] offset1:1
	ds_write2_b64 v62, v[18:19], v[20:21] offset0:2 offset1:3
	ds_write2_b64 v62, v[22:23], v[26:27] offset0:4 offset1:5
	;; [unrolled: 1-line block ×4, first 2 shown]
	ds_write_b64 v62, v[14:15] offset:80
	s_waitcnt lgkmcnt(0)
	; wave barrier
	s_waitcnt lgkmcnt(0)
	ds_read2_b64 v[16:19], v66 offset0:4 offset1:11
	ds_read2_b64 v[24:27], v66 offset0:15 offset1:22
	;; [unrolled: 1-line block ×3, first 2 shown]
	ds_read_b64 v[61:62], v67
	ds_read_b64 v[63:64], v66 offset:296
	s_and_saveexec_b64 s[0:1], vcc
	s_cbranch_execz .LBB0_7
; %bb.6:
	ds_read2_b64 v[12:15], v66 offset0:19 offset1:30
	ds_read_b64 v[59:60], v68 offset:64
	ds_read_b64 v[57:58], v66 offset:328
.LBB0_7:
	s_or_b64 exec, exec, s[0:1]
	s_waitcnt lgkmcnt(4)
	v_mul_f32_e32 v69, v5, v19
	v_mul_f32_e32 v5, v5, v18
	v_fmac_f32_e32 v69, v4, v18
	v_fma_f32 v4, v4, v19, -v5
	s_waitcnt lgkmcnt(3)
	v_mul_f32_e32 v5, v7, v27
	v_mul_f32_e32 v7, v7, v26
	v_fmac_f32_e32 v5, v6, v26
	v_fma_f32 v6, v6, v27, -v7
	s_waitcnt lgkmcnt(2)
	v_mul_f32_e32 v7, v54, v23
	v_mul_f32_e32 v18, v54, v22
	;; [unrolled: 1-line block ×4, first 2 shown]
	v_fmac_f32_e32 v7, v53, v22
	v_fma_f32 v18, v53, v23, -v18
	v_fmac_f32_e32 v19, v8, v24
	v_fma_f32 v22, v8, v25, -v9
	v_mul_f32_e32 v23, v11, v21
	v_mul_f32_e32 v8, v11, v20
	v_fmac_f32_e32 v23, v10, v20
	v_fma_f32 v20, v10, v21, -v8
	s_waitcnt lgkmcnt(0)
	v_mul_f32_e32 v8, v56, v63
	v_mul_f32_e32 v21, v56, v64
	v_fma_f32 v24, v55, v64, -v8
	v_sub_f32_e32 v10, v61, v5
	v_sub_f32_e32 v11, v62, v6
	;; [unrolled: 1-line block ×4, first 2 shown]
	v_fmac_f32_e32 v21, v55, v63
	v_fma_f32 v6, v61, 2.0, -v10
	v_fma_f32 v8, v62, 2.0, -v11
	;; [unrolled: 1-line block ×4, first 2 shown]
	v_sub_f32_e32 v25, v17, v20
	v_sub_f32_e32 v24, v22, v24
	;; [unrolled: 1-line block ×5, first 2 shown]
	v_fma_f32 v20, v17, 2.0, -v25
	v_sub_f32_e32 v21, v19, v21
	v_fma_f32 v17, v22, 2.0, -v24
	v_fma_f32 v7, v8, 2.0, -v5
	v_add_f32_e32 v8, v10, v18
	v_fma_f32 v18, v16, 2.0, -v23
	v_fma_f32 v16, v19, 2.0, -v21
	v_sub_f32_e32 v17, v20, v17
	v_fma_f32 v6, v6, 2.0, -v4
	v_sub_f32_e32 v9, v11, v9
	v_sub_f32_e32 v16, v18, v16
	v_fma_f32 v19, v20, 2.0, -v17
	v_add_f32_e32 v20, v23, v24
	v_sub_f32_e32 v21, v25, v21
	v_fma_f32 v10, v10, 2.0, -v8
	v_fma_f32 v11, v11, 2.0, -v9
	;; [unrolled: 1-line block ×5, first 2 shown]
	ds_write_b64 v67, v[6:7]
	ds_write2_b64 v66, v[18:19], v[10:11] offset0:4 offset1:11
	ds_write2_b64 v66, v[22:23], v[4:5] offset0:15 offset1:22
	;; [unrolled: 1-line block ×3, first 2 shown]
	ds_write_b64 v66, v[20:21] offset:296
	s_and_saveexec_b64 s[0:1], vcc
	s_cbranch_execz .LBB0_9
; %bb.8:
	v_mul_f32_e32 v4, v3, v14
	v_fma_f32 v4, v2, v15, -v4
	v_sub_f32_e32 v7, v60, v4
	v_mul_f32_e32 v9, v1, v13
	v_mul_f32_e32 v4, v52, v58
	;; [unrolled: 1-line block ×3, first 2 shown]
	v_fmac_f32_e32 v9, v0, v12
	v_fmac_f32_e32 v4, v51, v57
	v_mul_f32_e32 v3, v3, v15
	v_fma_f32 v0, v0, v13, -v1
	v_mul_f32_e32 v1, v52, v57
	v_sub_f32_e32 v10, v9, v4
	v_fmac_f32_e32 v3, v2, v14
	v_fma_f32 v1, v51, v58, -v1
	v_sub_f32_e32 v4, v7, v10
	v_sub_f32_e32 v2, v59, v3
	;; [unrolled: 1-line block ×3, first 2 shown]
	v_fma_f32 v6, v7, 2.0, -v4
	v_add_f32_e32 v3, v2, v1
	v_fma_f32 v7, v60, 2.0, -v7
	v_fma_f32 v0, v0, 2.0, -v1
	;; [unrolled: 1-line block ×3, first 2 shown]
	v_sub_f32_e32 v1, v7, v0
	v_fma_f32 v2, v59, 2.0, -v2
	v_fma_f32 v0, v9, 2.0, -v10
	v_sub_f32_e32 v0, v2, v0
	v_fma_f32 v8, v7, 2.0, -v1
	v_fma_f32 v7, v2, 2.0, -v0
	ds_write_b64 v68, v[7:8] offset:64
	ds_write2_b64 v66, v[5:6], v[0:1] offset0:19 offset1:30
	ds_write_b64 v66, v[3:4] offset:328
.LBB0_9:
	s_or_b64 exec, exec, s[0:1]
	v_mad_u64_u32 v[4:5], s[0:1], s6, v50, 0
	s_waitcnt lgkmcnt(0)
	; wave barrier
	s_waitcnt lgkmcnt(0)
	ds_read_b64 v[0:1], v67
	ds_read_b64 v[14:15], v68 offset:64
	v_mov_b32_e32 v2, v5
	v_mad_u64_u32 v[2:3], s[0:1], s7, v50, v[2:3]
	ds_read_b64 v[6:7], v66 offset:320
	s_waitcnt lgkmcnt(2)
	v_mul_f32_e32 v3, v49, v1
	v_fmac_f32_e32 v3, v48, v0
	v_mul_f32_e32 v0, v49, v0
	v_fma_f32 v0, v48, v1, -v0
	v_cvt_f64_f32_e32 v[8:9], v3
	v_cvt_f64_f32_e32 v[0:1], v0
	s_mov_b32 s0, 0x745d1746
	v_mad_u64_u32 v[10:11], s[2:3], s4, v65, 0
	s_mov_b32 s1, 0x3f9745d1
	v_mul_f64 v[8:9], v[8:9], s[0:1]
	v_mul_f64 v[12:13], v[0:1], s[0:1]
	v_mov_b32_e32 v0, v11
	v_mov_b32_e32 v5, v2
	v_mad_u64_u32 v[16:17], s[2:3], s5, v65, v[0:1]
	ds_read2_b64 v[0:3], v66 offset0:4 offset1:12
	v_lshlrev_b64 v[4:5], 3, v[4:5]
	v_cvt_f32_f64_e32 v8, v[8:9]
	v_cvt_f32_f64_e32 v9, v[12:13]
	v_mov_b32_e32 v11, v16
	s_waitcnt lgkmcnt(0)
	v_mul_f32_e32 v12, v47, v1
	v_fmac_f32_e32 v12, v46, v0
	v_cvt_f64_f32_e32 v[12:13], v12
	v_mul_f32_e32 v0, v47, v0
	v_mov_b32_e32 v16, s13
	v_add_co_u32_e32 v17, vcc, s12, v4
	v_fma_f32 v0, v46, v1, -v0
	v_addc_co_u32_e32 v16, vcc, v16, v5, vcc
	v_lshlrev_b64 v[4:5], 3, v[10:11]
	v_mul_f64 v[10:11], v[12:13], s[0:1]
	v_cvt_f64_f32_e32 v[0:1], v0
	v_add_co_u32_e32 v4, vcc, v17, v4
	v_addc_co_u32_e32 v5, vcc, v16, v5, vcc
	v_mul_f64 v[0:1], v[0:1], s[0:1]
	global_store_dwordx2 v[4:5], v[8:9], off
	v_mul_f32_e32 v9, v41, v15
	v_fmac_f32_e32 v9, v40, v14
	v_cvt_f32_f64_e32 v8, v[10:11]
	v_cvt_f64_f32_e32 v[10:11], v9
	v_mul_f32_e32 v9, v41, v14
	v_fma_f32 v9, v40, v15, -v9
	v_cvt_f64_f32_e32 v[12:13], v9
	v_cvt_f32_f64_e32 v9, v[0:1]
	v_mul_f64 v[0:1], v[10:11], s[0:1]
	s_lshl_b64 s[2:3], s[4:5], 5
	v_mul_f64 v[10:11], v[12:13], s[0:1]
	v_mov_b32_e32 v16, s3
	v_add_co_u32_e32 v4, vcc, s2, v4
	v_addc_co_u32_e32 v5, vcc, v5, v16, vcc
	global_store_dwordx2 v[4:5], v[8:9], off
	v_cvt_f32_f64_e32 v8, v[0:1]
	v_mul_f32_e32 v0, v29, v3
	v_fmac_f32_e32 v0, v28, v2
	v_cvt_f32_f64_e32 v9, v[10:11]
	v_cvt_f64_f32_e32 v[10:11], v0
	v_mul_f32_e32 v0, v29, v2
	v_fma_f32 v0, v28, v3, -v0
	v_cvt_f64_f32_e32 v[12:13], v0
	ds_read2_b64 v[0:3], v66 offset0:16 offset1:20
	v_mul_f64 v[10:11], v[10:11], s[0:1]
	v_add_co_u32_e32 v4, vcc, s2, v4
	v_mul_f64 v[12:13], v[12:13], s[0:1]
	s_waitcnt lgkmcnt(0)
	v_mul_f32_e32 v14, v43, v1
	v_fmac_f32_e32 v14, v42, v0
	v_mul_f32_e32 v0, v43, v0
	v_fma_f32 v0, v42, v1, -v0
	v_cvt_f64_f32_e32 v[0:1], v0
	v_cvt_f64_f32_e32 v[14:15], v14
	v_addc_co_u32_e32 v5, vcc, v5, v16, vcc
	v_mul_f64 v[0:1], v[0:1], s[0:1]
	global_store_dwordx2 v[4:5], v[8:9], off
	v_cvt_f32_f64_e32 v8, v[10:11]
	v_mul_f64 v[10:11], v[14:15], s[0:1]
	v_cvt_f32_f64_e32 v9, v[12:13]
	v_add_co_u32_e32 v4, vcc, s2, v4
	v_addc_co_u32_e32 v5, vcc, v5, v16, vcc
	global_store_dwordx2 v[4:5], v[8:9], off
	v_cvt_f32_f64_e32 v9, v[0:1]
	v_mul_f32_e32 v0, v31, v3
	v_fmac_f32_e32 v0, v30, v2
	v_cvt_f32_f64_e32 v8, v[10:11]
	v_cvt_f64_f32_e32 v[10:11], v0
	v_mul_f32_e32 v0, v31, v2
	v_fma_f32 v0, v30, v3, -v0
	v_cvt_f64_f32_e32 v[12:13], v0
	ds_read2_b64 v[0:3], v66 offset0:24 offset1:28
	v_mul_f64 v[10:11], v[10:11], s[0:1]
	v_add_co_u32_e32 v4, vcc, s2, v4
	v_mul_f64 v[12:13], v[12:13], s[0:1]
	s_waitcnt lgkmcnt(0)
	v_mul_f32_e32 v14, v45, v1
	v_fmac_f32_e32 v14, v44, v0
	v_mul_f32_e32 v0, v45, v0
	v_fma_f32 v0, v44, v1, -v0
	v_cvt_f64_f32_e32 v[0:1], v0
	v_cvt_f64_f32_e32 v[14:15], v14
	v_addc_co_u32_e32 v5, vcc, v5, v16, vcc
	v_mul_f64 v[0:1], v[0:1], s[0:1]
	global_store_dwordx2 v[4:5], v[8:9], off
	v_cvt_f32_f64_e32 v8, v[10:11]
	v_mul_f64 v[10:11], v[14:15], s[0:1]
	v_cvt_f32_f64_e32 v9, v[12:13]
	v_add_co_u32_e32 v4, vcc, s2, v4
	v_addc_co_u32_e32 v5, vcc, v5, v16, vcc
	global_store_dwordx2 v[4:5], v[8:9], off
	v_cvt_f32_f64_e32 v9, v[0:1]
	v_mul_f32_e32 v0, v33, v3
	v_fmac_f32_e32 v0, v32, v2
	v_cvt_f32_f64_e32 v8, v[10:11]
	v_cvt_f64_f32_e32 v[10:11], v0
	v_mul_f32_e32 v0, v33, v2
	v_fma_f32 v0, v32, v3, -v0
	v_cvt_f64_f32_e32 v[12:13], v0
	ds_read2_b64 v[0:3], v66 offset0:32 offset1:36
	v_mul_f64 v[10:11], v[10:11], s[0:1]
	v_add_co_u32_e32 v4, vcc, s2, v4
	v_mul_f64 v[12:13], v[12:13], s[0:1]
	s_waitcnt lgkmcnt(0)
	v_mul_f32_e32 v14, v39, v1
	v_fmac_f32_e32 v14, v38, v0
	v_mul_f32_e32 v0, v39, v0
	v_fma_f32 v0, v38, v1, -v0
	v_cvt_f64_f32_e32 v[0:1], v0
	v_cvt_f64_f32_e32 v[14:15], v14
	v_addc_co_u32_e32 v5, vcc, v5, v16, vcc
	v_mul_f64 v[0:1], v[0:1], s[0:1]
	global_store_dwordx2 v[4:5], v[8:9], off
	v_cvt_f32_f64_e32 v8, v[10:11]
	v_mul_f64 v[10:11], v[14:15], s[0:1]
	v_cvt_f32_f64_e32 v9, v[12:13]
	v_add_co_u32_e32 v4, vcc, s2, v4
	v_addc_co_u32_e32 v5, vcc, v5, v16, vcc
	global_store_dwordx2 v[4:5], v[8:9], off
	v_cvt_f32_f64_e32 v9, v[0:1]
	v_mul_f32_e32 v0, v35, v3
	v_fmac_f32_e32 v0, v34, v2
	v_mul_f32_e32 v2, v35, v2
	v_fma_f32 v2, v34, v3, -v2
	v_cvt_f64_f32_e32 v[0:1], v0
	v_cvt_f64_f32_e32 v[2:3], v2
	v_cvt_f32_f64_e32 v8, v[10:11]
	v_mul_f32_e32 v10, v37, v7
	v_fmac_f32_e32 v10, v36, v6
	v_mul_f32_e32 v6, v37, v6
	v_fma_f32 v6, v36, v7, -v6
	v_mul_f64 v[0:1], v[0:1], s[0:1]
	v_mul_f64 v[2:3], v[2:3], s[0:1]
	v_cvt_f64_f32_e32 v[10:11], v10
	v_cvt_f64_f32_e32 v[6:7], v6
	v_add_co_u32_e32 v4, vcc, s2, v4
	v_addc_co_u32_e32 v5, vcc, v5, v16, vcc
	global_store_dwordx2 v[4:5], v[8:9], off
	v_mul_f64 v[8:9], v[10:11], s[0:1]
	v_mul_f64 v[6:7], v[6:7], s[0:1]
	v_cvt_f32_f64_e32 v0, v[0:1]
	v_cvt_f32_f64_e32 v1, v[2:3]
	v_add_co_u32_e32 v2, vcc, s2, v4
	v_addc_co_u32_e32 v3, vcc, v5, v16, vcc
	global_store_dwordx2 v[2:3], v[0:1], off
	v_cvt_f32_f64_e32 v0, v[8:9]
	v_cvt_f32_f64_e32 v1, v[6:7]
	v_add_co_u32_e32 v2, vcc, s2, v2
	v_addc_co_u32_e32 v3, vcc, v3, v16, vcc
	global_store_dwordx2 v[2:3], v[0:1], off
.LBB0_10:
	s_endpgm
	.section	.rodata,"a",@progbits
	.p2align	6, 0x0
	.amdhsa_kernel bluestein_single_back_len44_dim1_sp_op_CI_CI
		.amdhsa_group_segment_fixed_size 5632
		.amdhsa_private_segment_fixed_size 0
		.amdhsa_kernarg_size 104
		.amdhsa_user_sgpr_count 6
		.amdhsa_user_sgpr_private_segment_buffer 1
		.amdhsa_user_sgpr_dispatch_ptr 0
		.amdhsa_user_sgpr_queue_ptr 0
		.amdhsa_user_sgpr_kernarg_segment_ptr 1
		.amdhsa_user_sgpr_dispatch_id 0
		.amdhsa_user_sgpr_flat_scratch_init 0
		.amdhsa_user_sgpr_private_segment_size 0
		.amdhsa_uses_dynamic_stack 0
		.amdhsa_system_sgpr_private_segment_wavefront_offset 0
		.amdhsa_system_sgpr_workgroup_id_x 1
		.amdhsa_system_sgpr_workgroup_id_y 0
		.amdhsa_system_sgpr_workgroup_id_z 0
		.amdhsa_system_sgpr_workgroup_info 0
		.amdhsa_system_vgpr_workitem_id 0
		.amdhsa_next_free_vgpr 100
		.amdhsa_next_free_sgpr 20
		.amdhsa_reserve_vcc 1
		.amdhsa_reserve_flat_scratch 0
		.amdhsa_float_round_mode_32 0
		.amdhsa_float_round_mode_16_64 0
		.amdhsa_float_denorm_mode_32 3
		.amdhsa_float_denorm_mode_16_64 3
		.amdhsa_dx10_clamp 1
		.amdhsa_ieee_mode 1
		.amdhsa_fp16_overflow 0
		.amdhsa_exception_fp_ieee_invalid_op 0
		.amdhsa_exception_fp_denorm_src 0
		.amdhsa_exception_fp_ieee_div_zero 0
		.amdhsa_exception_fp_ieee_overflow 0
		.amdhsa_exception_fp_ieee_underflow 0
		.amdhsa_exception_fp_ieee_inexact 0
		.amdhsa_exception_int_div_zero 0
	.end_amdhsa_kernel
	.text
.Lfunc_end0:
	.size	bluestein_single_back_len44_dim1_sp_op_CI_CI, .Lfunc_end0-bluestein_single_back_len44_dim1_sp_op_CI_CI
                                        ; -- End function
	.section	.AMDGPU.csdata,"",@progbits
; Kernel info:
; codeLenInByte = 7788
; NumSgprs: 24
; NumVgprs: 100
; ScratchSize: 0
; MemoryBound: 0
; FloatMode: 240
; IeeeMode: 1
; LDSByteSize: 5632 bytes/workgroup (compile time only)
; SGPRBlocks: 2
; VGPRBlocks: 24
; NumSGPRsForWavesPerEU: 24
; NumVGPRsForWavesPerEU: 100
; Occupancy: 2
; WaveLimiterHint : 1
; COMPUTE_PGM_RSRC2:SCRATCH_EN: 0
; COMPUTE_PGM_RSRC2:USER_SGPR: 6
; COMPUTE_PGM_RSRC2:TRAP_HANDLER: 0
; COMPUTE_PGM_RSRC2:TGID_X_EN: 1
; COMPUTE_PGM_RSRC2:TGID_Y_EN: 0
; COMPUTE_PGM_RSRC2:TGID_Z_EN: 0
; COMPUTE_PGM_RSRC2:TIDIG_COMP_CNT: 0
	.type	__hip_cuid_4e9e50c50df2f1cf,@object ; @__hip_cuid_4e9e50c50df2f1cf
	.section	.bss,"aw",@nobits
	.globl	__hip_cuid_4e9e50c50df2f1cf
__hip_cuid_4e9e50c50df2f1cf:
	.byte	0                               ; 0x0
	.size	__hip_cuid_4e9e50c50df2f1cf, 1

	.ident	"AMD clang version 19.0.0git (https://github.com/RadeonOpenCompute/llvm-project roc-6.4.0 25133 c7fe45cf4b819c5991fe208aaa96edf142730f1d)"
	.section	".note.GNU-stack","",@progbits
	.addrsig
	.addrsig_sym __hip_cuid_4e9e50c50df2f1cf
	.amdgpu_metadata
---
amdhsa.kernels:
  - .args:
      - .actual_access:  read_only
        .address_space:  global
        .offset:         0
        .size:           8
        .value_kind:     global_buffer
      - .actual_access:  read_only
        .address_space:  global
        .offset:         8
        .size:           8
        .value_kind:     global_buffer
      - .actual_access:  read_only
        .address_space:  global
        .offset:         16
        .size:           8
        .value_kind:     global_buffer
      - .actual_access:  read_only
        .address_space:  global
        .offset:         24
        .size:           8
        .value_kind:     global_buffer
      - .actual_access:  read_only
        .address_space:  global
        .offset:         32
        .size:           8
        .value_kind:     global_buffer
      - .offset:         40
        .size:           8
        .value_kind:     by_value
      - .address_space:  global
        .offset:         48
        .size:           8
        .value_kind:     global_buffer
      - .address_space:  global
        .offset:         56
        .size:           8
        .value_kind:     global_buffer
      - .address_space:  global
        .offset:         64
        .size:           8
        .value_kind:     global_buffer
      - .address_space:  global
        .offset:         72
        .size:           8
        .value_kind:     global_buffer
      - .offset:         80
        .size:           4
        .value_kind:     by_value
      - .address_space:  global
        .offset:         88
        .size:           8
        .value_kind:     global_buffer
      - .address_space:  global
        .offset:         96
        .size:           8
        .value_kind:     global_buffer
    .group_segment_fixed_size: 5632
    .kernarg_segment_align: 8
    .kernarg_segment_size: 104
    .language:       OpenCL C
    .language_version:
      - 2
      - 0
    .max_flat_workgroup_size: 64
    .name:           bluestein_single_back_len44_dim1_sp_op_CI_CI
    .private_segment_fixed_size: 0
    .sgpr_count:     24
    .sgpr_spill_count: 0
    .symbol:         bluestein_single_back_len44_dim1_sp_op_CI_CI.kd
    .uniform_work_group_size: 1
    .uses_dynamic_stack: false
    .vgpr_count:     100
    .vgpr_spill_count: 0
    .wavefront_size: 64
amdhsa.target:   amdgcn-amd-amdhsa--gfx906
amdhsa.version:
  - 1
  - 2
...

	.end_amdgpu_metadata
